;; amdgpu-corpus repo=zjin-lcf/HeCBench kind=compiled arch=gfx1100 opt=O3
	.text
	.amdgcn_target "amdgcn-amd-amdhsa--gfx1100"
	.amdhsa_code_object_version 6
	.protected	_Z10chi_kerneljjiiPKhPf ; -- Begin function _Z10chi_kerneljjiiPKhPf
	.globl	_Z10chi_kerneljjiiPKhPf
	.p2align	8
	.type	_Z10chi_kerneljjiiPKhPf,@function
_Z10chi_kerneljjiiPKhPf:                ; @_Z10chi_kerneljjiiPKhPf
; %bb.0:
	s_clause 0x1
	s_load_b32 s2, s[0:1], 0x2c
	s_load_b128 s[8:11], s[0:1], 0x4
	s_waitcnt lgkmcnt(0)
	s_and_b32 s2, s2, 0xffff
	s_delay_alu instid0(SALU_CYCLE_1) | instskip(SKIP_1) | instid1(VALU_DEP_1)
	v_mad_u64_u32 v[1:2], null, s15, s2, v[0:1]
	s_mov_b32 s2, exec_lo
	v_cmpx_gt_u32_e64 s8, v1
	s_cbranch_execz .LBB0_35
; %bb.1:
	s_load_b128 s[4:7], s[0:1], 0x10
	v_dual_mov_b32 v6, 1 :: v_dual_mov_b32 v5, 1
	v_ashrrev_i32_e32 v2, 31, v1
	v_mov_b32_e32 v0, 1
	s_cmp_lt_i32 s9, 1
	s_cbranch_scc1 .LBB0_16
; %bb.2:
	s_waitcnt lgkmcnt(0)
	v_add_co_u32 v3, vcc_lo, s4, v1
	v_add_co_ci_u32_e32 v4, vcc_lo, s5, v2, vcc_lo
	v_dual_mov_b32 v5, 1 :: v_dual_mov_b32 v0, 1
	v_mov_b32_e32 v6, 1
	s_mov_b32 s0, s9
	s_set_inst_prefetch_distance 0x1
	s_branch .LBB0_5
	.p2align	6
.LBB0_3:                                ;   in Loop: Header=BB0_5 Depth=1
	s_or_b32 exec_lo, exec_lo, s2
.LBB0_4:                                ;   in Loop: Header=BB0_5 Depth=1
	s_delay_alu instid0(SALU_CYCLE_1) | instskip(SKIP_3) | instid1(SALU_CYCLE_1)
	s_or_b32 exec_lo, exec_lo, s1
	v_add_co_u32 v3, vcc_lo, v3, s8
	v_add_co_ci_u32_e32 v4, vcc_lo, 0, v4, vcc_lo
	s_add_i32 s0, s0, -1
	s_cmp_eq_u32 s0, 0
	s_cbranch_scc1 .LBB0_16
.LBB0_5:                                ; =>This Inner Loop Header: Depth=1
	global_load_u8 v7, v[3:4], off
	s_mov_b32 s1, exec_lo
	s_waitcnt vmcnt(0)
	v_cmpx_lt_i16_e32 48, v7
	s_xor_b32 s1, exec_lo, s1
	s_cbranch_execz .LBB0_13
; %bb.6:                                ;   in Loop: Header=BB0_5 Depth=1
	s_mov_b32 s2, exec_lo
	v_cmpx_lt_i16_e32 49, v7
	s_xor_b32 s2, exec_lo, s2
	s_cbranch_execz .LBB0_10
; %bb.7:                                ;   in Loop: Header=BB0_5 Depth=1
	s_mov_b32 s3, exec_lo
	v_cmpx_eq_u16_e32 50, v7
; %bb.8:                                ;   in Loop: Header=BB0_5 Depth=1
	v_add_nc_u32_e32 v0, 1, v0
; %bb.9:                                ;   in Loop: Header=BB0_5 Depth=1
	s_or_b32 exec_lo, exec_lo, s3
.LBB0_10:                               ;   in Loop: Header=BB0_5 Depth=1
	s_and_not1_saveexec_b32 s2, s2
; %bb.11:                               ;   in Loop: Header=BB0_5 Depth=1
	v_add_nc_u32_e32 v5, 1, v5
; %bb.12:                               ;   in Loop: Header=BB0_5 Depth=1
	s_or_b32 exec_lo, exec_lo, s2
                                        ; implicit-def: $vgpr7
.LBB0_13:                               ;   in Loop: Header=BB0_5 Depth=1
	s_and_not1_saveexec_b32 s1, s1
	s_cbranch_execz .LBB0_4
; %bb.14:                               ;   in Loop: Header=BB0_5 Depth=1
	s_mov_b32 s2, exec_lo
	v_cmpx_eq_u16_e32 48, v7
	s_cbranch_execz .LBB0_3
; %bb.15:                               ;   in Loop: Header=BB0_5 Depth=1
	v_add_nc_u32_e32 v6, 1, v6
	s_branch .LBB0_3
.LBB0_16:
	s_set_inst_prefetch_distance 0x2
	s_cmp_gt_i32 s10, 0
	s_mov_b32 s0, 0
	s_cbranch_scc1 .LBB0_18
; %bb.17:
	s_mov_b32 s1, 1
	s_branch .LBB0_19
.LBB0_18:
	s_mov_b32 s0, -1
                                        ; implicit-def: $sgpr1
.LBB0_19:
	v_dual_mov_b32 v9, s1 :: v_dual_mov_b32 v8, s1
	v_mov_b32_e32 v7, s1
	s_and_not1_b32 vcc_lo, exec_lo, s0
	s_cbranch_vccnz .LBB0_34
; %bb.20:
	s_ashr_i32 s1, s9, 31
	s_mul_hi_u32 s2, s9, s8
	s_mul_i32 s1, s1, s8
	s_mul_i32 s3, s9, s8
	s_add_i32 s0, s10, s9
	s_add_i32 s2, s2, s1
	s_waitcnt lgkmcnt(0)
	s_add_u32 s1, s4, s3
	s_addc_u32 s2, s5, s2
	v_add_co_u32 v3, vcc_lo, s1, v1
	v_add_co_ci_u32_e32 v4, vcc_lo, s2, v2, vcc_lo
	v_dual_mov_b32 v8, 1 :: v_dual_mov_b32 v7, 1
	v_mov_b32_e32 v9, 1
	s_set_inst_prefetch_distance 0x1
	s_branch .LBB0_23
	.p2align	6
.LBB0_21:                               ;   in Loop: Header=BB0_23 Depth=1
	s_or_b32 exec_lo, exec_lo, s2
.LBB0_22:                               ;   in Loop: Header=BB0_23 Depth=1
	s_delay_alu instid0(SALU_CYCLE_1) | instskip(SKIP_3) | instid1(SALU_CYCLE_1)
	s_or_b32 exec_lo, exec_lo, s1
	v_add_co_u32 v3, vcc_lo, v3, s8
	v_add_co_ci_u32_e32 v4, vcc_lo, 0, v4, vcc_lo
	s_add_i32 s9, s9, 1
	s_cmp_ge_i32 s9, s0
	s_cbranch_scc1 .LBB0_34
.LBB0_23:                               ; =>This Inner Loop Header: Depth=1
	global_load_u8 v10, v[3:4], off
	s_mov_b32 s1, exec_lo
	s_waitcnt vmcnt(0)
	v_cmpx_lt_i16_e32 48, v10
	s_xor_b32 s1, exec_lo, s1
	s_cbranch_execz .LBB0_31
; %bb.24:                               ;   in Loop: Header=BB0_23 Depth=1
	s_mov_b32 s2, exec_lo
	v_cmpx_lt_i16_e32 49, v10
	s_xor_b32 s2, exec_lo, s2
	s_cbranch_execz .LBB0_28
; %bb.25:                               ;   in Loop: Header=BB0_23 Depth=1
	s_mov_b32 s3, exec_lo
	v_cmpx_eq_u16_e32 50, v10
; %bb.26:                               ;   in Loop: Header=BB0_23 Depth=1
	v_add_nc_u32_e32 v7, 1, v7
; %bb.27:                               ;   in Loop: Header=BB0_23 Depth=1
	s_or_b32 exec_lo, exec_lo, s3
.LBB0_28:                               ;   in Loop: Header=BB0_23 Depth=1
	s_and_not1_saveexec_b32 s2, s2
; %bb.29:                               ;   in Loop: Header=BB0_23 Depth=1
	v_add_nc_u32_e32 v8, 1, v8
; %bb.30:                               ;   in Loop: Header=BB0_23 Depth=1
	s_or_b32 exec_lo, exec_lo, s2
                                        ; implicit-def: $vgpr10
.LBB0_31:                               ;   in Loop: Header=BB0_23 Depth=1
	s_and_not1_saveexec_b32 s1, s1
	s_cbranch_execz .LBB0_22
; %bb.32:                               ;   in Loop: Header=BB0_23 Depth=1
	s_mov_b32 s2, exec_lo
	v_cmpx_eq_u16_e32 48, v10
	s_cbranch_execz .LBB0_21
; %bb.33:                               ;   in Loop: Header=BB0_23 Depth=1
	v_add_nc_u32_e32 v9, 1, v9
	s_branch .LBB0_21
.LBB0_34:
	s_set_inst_prefetch_distance 0x2
	v_add_nc_u32_e32 v3, v6, v5
	v_add_nc_u32_e32 v4, v9, v8
	v_cvt_f32_i32_e32 v6, v6
	v_cvt_f32_i32_e32 v9, v9
	;; [unrolled: 1-line block ×3, first 2 shown]
	v_add3_u32 v3, v3, v0, 1
	v_add3_u32 v4, v4, v7, 1
	v_cvt_f32_i32_e32 v8, v8
	v_add_f32_e32 v10, v6, v9
	v_cvt_f32_i32_e32 v0, v0
	v_cvt_f32_i32_e32 v7, v7
	v_add_nc_u32_e32 v11, v4, v3
	v_cvt_f32_i32_e32 v3, v3
	v_cvt_f32_i32_e32 v4, v4
	s_delay_alu instid0(VALU_DEP_3) | instskip(NEXT) | instid1(VALU_DEP_3)
	v_cvt_f32_i32_e32 v11, v11
	v_mul_f32_e32 v12, v10, v3
	s_delay_alu instid0(VALU_DEP_1) | instskip(SKIP_1) | instid1(VALU_DEP_2)
	v_div_scale_f32 v13, null, v11, v11, v12
	v_div_scale_f32 v19, vcc_lo, v12, v11, v12
	v_rcp_f32_e32 v15, v13
	s_waitcnt_depctr 0xfff
	v_fma_f32 v17, -v13, v15, 1.0
	s_delay_alu instid0(VALU_DEP_1) | instskip(NEXT) | instid1(VALU_DEP_1)
	v_dual_mul_f32 v10, v10, v4 :: v_dual_fmac_f32 v15, v17, v15
	v_div_scale_f32 v14, null, v11, v11, v10
	v_div_scale_f32 v17, s0, v10, v11, v10
	s_delay_alu instid0(VALU_DEP_2) | instskip(SKIP_2) | instid1(VALU_DEP_1)
	v_rcp_f32_e32 v16, v14
	s_waitcnt_depctr 0xfff
	v_fma_f32 v18, -v14, v16, 1.0
	v_fmac_f32_e32 v16, v18, v16
	v_mul_f32_e32 v18, v19, v15
	s_delay_alu instid0(VALU_DEP_2) | instskip(NEXT) | instid1(VALU_DEP_2)
	v_mul_f32_e32 v20, v17, v16
	v_fma_f32 v21, -v13, v18, v19
	s_delay_alu instid0(VALU_DEP_2) | instskip(NEXT) | instid1(VALU_DEP_2)
	v_fma_f32 v22, -v14, v20, v17
	v_fmac_f32_e32 v18, v21, v15
	s_delay_alu instid0(VALU_DEP_2) | instskip(NEXT) | instid1(VALU_DEP_2)
	v_fmac_f32_e32 v20, v22, v16
	v_fma_f32 v13, -v13, v18, v19
	v_add_f32_e32 v19, v5, v8
	s_delay_alu instid0(VALU_DEP_3) | instskip(NEXT) | instid1(VALU_DEP_3)
	v_fma_f32 v14, -v14, v20, v17
	v_div_fmas_f32 v13, v13, v15, v18
	s_mov_b32 vcc_lo, s0
	s_delay_alu instid0(VALU_DEP_3) | instskip(NEXT) | instid1(VALU_DEP_3)
	v_mul_f32_e32 v15, v19, v3
	v_div_fmas_f32 v14, v14, v16, v20
	s_delay_alu instid0(VALU_DEP_3) | instskip(SKIP_1) | instid1(VALU_DEP_4)
	v_div_fixup_f32 v12, v13, v11, v12
	v_mul_f32_e32 v13, v19, v4
	v_div_scale_f32 v24, s0, v15, v11, v15
	s_delay_alu instid0(VALU_DEP_4) | instskip(SKIP_1) | instid1(VALU_DEP_4)
	v_div_fixup_f32 v10, v14, v11, v10
	v_div_scale_f32 v14, null, v11, v11, v15
	v_div_scale_f32 v16, null, v11, v11, v13
	s_delay_alu instid0(VALU_DEP_3) | instskip(NEXT) | instid1(VALU_DEP_3)
	v_sub_f32_e32 v9, v9, v10
	v_rcp_f32_e32 v17, v14
	v_sub_f32_e32 v6, v6, v12
	s_delay_alu instid0(VALU_DEP_3) | instskip(SKIP_2) | instid1(VALU_DEP_1)
	v_rcp_f32_e32 v18, v16
	v_div_scale_f32 v26, s1, v13, v11, v13
	v_mul_f32_e32 v9, v9, v9
	v_div_scale_f32 v20, null, v10, v10, v9
	s_waitcnt_depctr 0xfff
	v_fma_f32 v23, -v14, v17, 1.0
	v_fma_f32 v25, -v16, v18, 1.0
	v_rcp_f32_e32 v22, v20
	s_delay_alu instid0(VALU_DEP_2) | instskip(NEXT) | instid1(VALU_DEP_2)
	v_dual_fmac_f32 v17, v23, v17 :: v_dual_mul_f32 v6, v6, v6
	v_fmac_f32_e32 v18, v25, v18
	s_waitcnt_depctr 0xfff
	v_fma_f32 v25, -v20, v22, 1.0
	s_delay_alu instid0(VALU_DEP_1) | instskip(SKIP_2) | instid1(VALU_DEP_3)
	v_dual_fmac_f32 v22, v25, v22 :: v_dual_mul_f32 v25, v24, v17
	v_div_scale_f32 v19, null, v12, v12, v6
	v_div_scale_f32 v27, vcc_lo, v6, v12, v6
	v_fma_f32 v31, -v14, v25, v24
	s_delay_alu instid0(VALU_DEP_3) | instskip(NEXT) | instid1(VALU_DEP_1)
	v_rcp_f32_e32 v21, v19
	v_fmac_f32_e32 v25, v31, v17
	v_add_f32_e32 v31, v0, v7
	v_mul_f32_e32 v29, v26, v18
	s_delay_alu instid0(VALU_DEP_3) | instskip(SKIP_4) | instid1(VALU_DEP_3)
	v_fma_f32 v14, -v14, v25, v24
	s_waitcnt_depctr 0xfff
	v_fma_f32 v23, -v19, v21, 1.0
	v_fma_f32 v33, -v16, v29, v26
	v_mul_f32_e32 v3, v31, v3
	v_fmac_f32_e32 v21, v23, v21
	v_div_scale_f32 v23, s2, v9, v10, v9
	s_delay_alu instid0(VALU_DEP_2) | instskip(NEXT) | instid1(VALU_DEP_2)
	v_dual_fmac_f32 v29, v33, v18 :: v_dual_mul_f32 v28, v27, v21
	v_mul_f32_e32 v30, v23, v22
	s_delay_alu instid0(VALU_DEP_2) | instskip(NEXT) | instid1(VALU_DEP_3)
	v_fma_f32 v16, -v16, v29, v26
	v_fma_f32 v32, -v19, v28, v27
	s_delay_alu instid0(VALU_DEP_3) | instskip(NEXT) | instid1(VALU_DEP_2)
	v_fma_f32 v34, -v20, v30, v23
	v_fmac_f32_e32 v28, v32, v21
	s_delay_alu instid0(VALU_DEP_2) | instskip(NEXT) | instid1(VALU_DEP_2)
	v_fmac_f32_e32 v30, v34, v22
	v_fma_f32 v19, -v19, v28, v27
	s_delay_alu instid0(VALU_DEP_2) | instskip(NEXT) | instid1(VALU_DEP_2)
	v_fma_f32 v20, -v20, v30, v23
	v_div_fmas_f32 v19, v19, v21, v28
	s_mov_b32 vcc_lo, s2
	s_delay_alu instid0(VALU_DEP_2)
	v_div_fmas_f32 v20, v20, v22, v30
	s_mov_b32 vcc_lo, s0
	v_div_scale_f32 v26, s0, v3, v11, v3
	v_div_fmas_f32 v14, v14, v17, v25
	s_mov_b32 vcc_lo, s1
	v_div_fixup_f32 v6, v19, v12, v6
	v_div_fmas_f32 v16, v16, v18, v29
	v_div_fixup_f32 v9, v20, v10, v9
	v_div_fixup_f32 v14, v14, v11, v15
	v_mul_f32_e32 v4, v31, v4
	v_div_scale_f32 v15, null, v11, v11, v3
	v_div_fixup_f32 v13, v16, v11, v13
	s_delay_alu instid0(VALU_DEP_4) | instskip(NEXT) | instid1(VALU_DEP_4)
	v_sub_f32_e32 v5, v5, v14
	v_div_scale_f32 v16, null, v11, v11, v4
	s_delay_alu instid0(VALU_DEP_4) | instskip(SKIP_1) | instid1(VALU_DEP_3)
	v_rcp_f32_e32 v17, v15
	v_div_scale_f32 v28, s1, v4, v11, v4
	v_mul_f32_e32 v5, v5, v5
	s_delay_alu instid0(VALU_DEP_3) | instskip(SKIP_1) | instid1(VALU_DEP_2)
	v_rcp_f32_e32 v18, v16
	v_add_f32_e32 v6, v6, v9
	v_div_scale_f32 v21, null, v14, v14, v5
	s_waitcnt_depctr 0xfff
	v_fma_f32 v25, -v15, v17, 1.0
	v_div_scale_f32 v29, vcc_lo, v5, v14, v5
	v_rcp_f32_e32 v23, v21
	v_fma_f32 v27, -v16, v18, 1.0
	s_delay_alu instid0(VALU_DEP_3) | instskip(NEXT) | instid1(VALU_DEP_2)
	v_dual_fmac_f32 v17, v25, v17 :: v_dual_add_f32 v6, 0, v6
	v_fmac_f32_e32 v18, v27, v18
	s_waitcnt_depctr 0xfff
	v_fma_f32 v25, -v21, v23, 1.0
	v_sub_f32_e32 v8, v8, v13
	v_mul_f32_e32 v31, v28, v18
	s_delay_alu instid0(VALU_DEP_2) | instskip(NEXT) | instid1(VALU_DEP_2)
	v_dual_fmac_f32 v23, v25, v23 :: v_dual_mul_f32 v8, v8, v8
	v_fma_f32 v35, -v16, v31, v28
	s_delay_alu instid0(VALU_DEP_2) | instskip(NEXT) | instid1(VALU_DEP_3)
	v_mul_f32_e32 v30, v29, v23
	v_div_scale_f32 v22, null, v13, v13, v8
	s_delay_alu instid0(VALU_DEP_3) | instskip(NEXT) | instid1(VALU_DEP_3)
	v_fmac_f32_e32 v31, v35, v18
	v_fma_f32 v34, -v21, v30, v29
	s_delay_alu instid0(VALU_DEP_3) | instskip(NEXT) | instid1(VALU_DEP_2)
	v_rcp_f32_e32 v24, v22
	v_fma_f32 v16, -v16, v31, v28
	s_delay_alu instid0(VALU_DEP_2) | instskip(NEXT) | instid1(VALU_DEP_1)
	v_fmac_f32_e32 v30, v34, v23
	v_fma_f32 v21, -v21, v30, v29
	s_waitcnt_depctr 0xfff
	v_fma_f32 v27, -v22, v24, 1.0
	v_div_fmas_f32 v21, v21, v23, v30
	s_delay_alu instid0(VALU_DEP_2) | instskip(SKIP_1) | instid1(VALU_DEP_1)
	v_dual_fmac_f32 v24, v27, v24 :: v_dual_mul_f32 v27, v26, v17
	v_div_scale_f32 v25, s2, v8, v13, v8
	s_mov_b32 vcc_lo, s2
	s_delay_alu instid0(VALU_DEP_3) | instskip(NEXT) | instid1(VALU_DEP_3)
	v_div_fixup_f32 v5, v21, v14, v5
	v_fma_f32 v33, -v15, v27, v26
	s_delay_alu instid0(VALU_DEP_3) | instskip(NEXT) | instid1(VALU_DEP_2)
	v_mul_f32_e32 v32, v25, v24
	v_fmac_f32_e32 v27, v33, v17
	s_delay_alu instid0(VALU_DEP_2) | instskip(NEXT) | instid1(VALU_DEP_2)
	v_fma_f32 v36, -v22, v32, v25
	v_fma_f32 v15, -v15, v27, v26
	s_delay_alu instid0(VALU_DEP_2) | instskip(NEXT) | instid1(VALU_DEP_1)
	v_fmac_f32_e32 v32, v36, v24
	v_fma_f32 v22, -v22, v32, v25
	s_delay_alu instid0(VALU_DEP_1) | instskip(SKIP_3) | instid1(VALU_DEP_2)
	v_div_fmas_f32 v22, v22, v24, v32
	s_mov_b32 vcc_lo, s0
	v_div_fmas_f32 v15, v15, v17, v27
	s_mov_b32 vcc_lo, s1
	v_div_fixup_f32 v8, v22, v13, v8
	v_div_fmas_f32 v16, v16, v18, v31
	s_delay_alu instid0(VALU_DEP_3) | instskip(NEXT) | instid1(VALU_DEP_2)
	v_div_fixup_f32 v3, v15, v11, v3
	v_div_fixup_f32 v4, v16, v11, v4
	s_delay_alu instid0(VALU_DEP_1) | instskip(NEXT) | instid1(VALU_DEP_1)
	v_dual_sub_f32 v0, v0, v3 :: v_dual_sub_f32 v7, v7, v4
	v_mul_f32_e32 v7, v7, v7
	s_delay_alu instid0(VALU_DEP_1) | instskip(NEXT) | instid1(VALU_DEP_1)
	v_div_scale_f32 v15, null, v4, v4, v7
	v_rcp_f32_e32 v17, v15
	s_waitcnt_depctr 0xfff
	v_fma_f32 v23, -v15, v17, 1.0
	s_delay_alu instid0(VALU_DEP_1) | instskip(NEXT) | instid1(VALU_DEP_1)
	v_dual_fmac_f32 v17, v23, v17 :: v_dual_mul_f32 v0, v0, v0
	v_div_scale_f32 v11, null, v3, v3, v0
	s_delay_alu instid0(VALU_DEP_1) | instskip(SKIP_2) | instid1(VALU_DEP_1)
	v_rcp_f32_e32 v16, v11
	s_waitcnt_depctr 0xfff
	v_fma_f32 v18, -v11, v16, 1.0
	v_fmac_f32_e32 v16, v18, v16
	v_div_scale_f32 v18, s0, v7, v4, v7
	s_delay_alu instid0(VALU_DEP_1) | instskip(SKIP_1) | instid1(VALU_DEP_2)
	v_mul_f32_e32 v25, v18, v17
	v_div_scale_f32 v24, vcc_lo, v0, v3, v0
	v_fma_f32 v12, -v15, v25, v18
	s_delay_alu instid0(VALU_DEP_1) | instskip(NEXT) | instid1(VALU_DEP_3)
	v_fmac_f32_e32 v25, v12, v17
	v_mul_f32_e32 v23, v24, v16
	s_delay_alu instid0(VALU_DEP_2) | instskip(NEXT) | instid1(VALU_DEP_2)
	v_fma_f32 v10, -v15, v25, v18
	v_fma_f32 v26, -v11, v23, v24
	s_delay_alu instid0(VALU_DEP_1) | instskip(NEXT) | instid1(VALU_DEP_1)
	v_fmac_f32_e32 v23, v26, v16
	v_fma_f32 v9, -v11, v23, v24
	s_delay_alu instid0(VALU_DEP_1) | instskip(SKIP_2) | instid1(VALU_DEP_2)
	v_div_fmas_f32 v9, v9, v16, v23
	s_mov_b32 vcc_lo, s0
	v_div_fmas_f32 v10, v10, v17, v25
	v_div_fixup_f32 v0, v9, v3, v0
	s_delay_alu instid0(VALU_DEP_2) | instskip(NEXT) | instid1(VALU_DEP_1)
	v_div_fixup_f32 v3, v10, v4, v7
	v_add_f32_e32 v3, v0, v3
	v_add_f32_e32 v5, v5, v8
	v_lshlrev_b64 v[0:1], 2, v[1:2]
	s_delay_alu instid0(VALU_DEP_2) | instskip(SKIP_1) | instid1(VALU_DEP_2)
	v_add_f32_e32 v4, v6, v5
	s_waitcnt lgkmcnt(0)
	v_add_co_u32 v0, vcc_lo, s6, v0
	s_delay_alu instid0(VALU_DEP_3) | instskip(NEXT) | instid1(VALU_DEP_3)
	v_add_co_ci_u32_e32 v1, vcc_lo, s7, v1, vcc_lo
	v_add_f32_e32 v2, v4, v3
	global_store_b32 v[0:1], v2, off
.LBB0_35:
	s_nop 0
	s_sendmsg sendmsg(MSG_DEALLOC_VGPRS)
	s_endpgm
	.section	.rodata,"a",@progbits
	.p2align	6, 0x0
	.amdhsa_kernel _Z10chi_kerneljjiiPKhPf
		.amdhsa_group_segment_fixed_size 0
		.amdhsa_private_segment_fixed_size 0
		.amdhsa_kernarg_size 288
		.amdhsa_user_sgpr_count 15
		.amdhsa_user_sgpr_dispatch_ptr 0
		.amdhsa_user_sgpr_queue_ptr 0
		.amdhsa_user_sgpr_kernarg_segment_ptr 1
		.amdhsa_user_sgpr_dispatch_id 0
		.amdhsa_user_sgpr_private_segment_size 0
		.amdhsa_wavefront_size32 1
		.amdhsa_uses_dynamic_stack 0
		.amdhsa_enable_private_segment 0
		.amdhsa_system_sgpr_workgroup_id_x 1
		.amdhsa_system_sgpr_workgroup_id_y 0
		.amdhsa_system_sgpr_workgroup_id_z 0
		.amdhsa_system_sgpr_workgroup_info 0
		.amdhsa_system_vgpr_workitem_id 0
		.amdhsa_next_free_vgpr 37
		.amdhsa_next_free_sgpr 16
		.amdhsa_reserve_vcc 1
		.amdhsa_float_round_mode_32 0
		.amdhsa_float_round_mode_16_64 0
		.amdhsa_float_denorm_mode_32 3
		.amdhsa_float_denorm_mode_16_64 3
		.amdhsa_dx10_clamp 1
		.amdhsa_ieee_mode 1
		.amdhsa_fp16_overflow 0
		.amdhsa_workgroup_processor_mode 1
		.amdhsa_memory_ordered 1
		.amdhsa_forward_progress 0
		.amdhsa_shared_vgpr_count 0
		.amdhsa_exception_fp_ieee_invalid_op 0
		.amdhsa_exception_fp_denorm_src 0
		.amdhsa_exception_fp_ieee_div_zero 0
		.amdhsa_exception_fp_ieee_overflow 0
		.amdhsa_exception_fp_ieee_underflow 0
		.amdhsa_exception_fp_ieee_inexact 0
		.amdhsa_exception_int_div_zero 0
	.end_amdhsa_kernel
	.text
.Lfunc_end0:
	.size	_Z10chi_kerneljjiiPKhPf, .Lfunc_end0-_Z10chi_kerneljjiiPKhPf
                                        ; -- End function
	.section	.AMDGPU.csdata,"",@progbits
; Kernel info:
; codeLenInByte = 1880
; NumSgprs: 18
; NumVgprs: 37
; ScratchSize: 0
; MemoryBound: 0
; FloatMode: 240
; IeeeMode: 1
; LDSByteSize: 0 bytes/workgroup (compile time only)
; SGPRBlocks: 2
; VGPRBlocks: 4
; NumSGPRsForWavesPerEU: 18
; NumVGPRsForWavesPerEU: 37
; Occupancy: 16
; WaveLimiterHint : 0
; COMPUTE_PGM_RSRC2:SCRATCH_EN: 0
; COMPUTE_PGM_RSRC2:USER_SGPR: 15
; COMPUTE_PGM_RSRC2:TRAP_HANDLER: 0
; COMPUTE_PGM_RSRC2:TGID_X_EN: 1
; COMPUTE_PGM_RSRC2:TGID_Y_EN: 0
; COMPUTE_PGM_RSRC2:TGID_Z_EN: 0
; COMPUTE_PGM_RSRC2:TIDIG_COMP_CNT: 0
	.text
	.p2alignl 7, 3214868480
	.fill 96, 4, 3214868480
	.type	__hip_cuid_13460c927f9b8bb4,@object ; @__hip_cuid_13460c927f9b8bb4
	.section	.bss,"aw",@nobits
	.globl	__hip_cuid_13460c927f9b8bb4
__hip_cuid_13460c927f9b8bb4:
	.byte	0                               ; 0x0
	.size	__hip_cuid_13460c927f9b8bb4, 1

	.ident	"AMD clang version 19.0.0git (https://github.com/RadeonOpenCompute/llvm-project roc-6.4.0 25133 c7fe45cf4b819c5991fe208aaa96edf142730f1d)"
	.section	".note.GNU-stack","",@progbits
	.addrsig
	.addrsig_sym __hip_cuid_13460c927f9b8bb4
	.amdgpu_metadata
---
amdhsa.kernels:
  - .args:
      - .offset:         0
        .size:           4
        .value_kind:     by_value
      - .offset:         4
        .size:           4
        .value_kind:     by_value
      - .offset:         8
        .size:           4
        .value_kind:     by_value
      - .offset:         12
        .size:           4
        .value_kind:     by_value
      - .actual_access:  read_only
        .address_space:  global
        .offset:         16
        .size:           8
        .value_kind:     global_buffer
      - .actual_access:  write_only
        .address_space:  global
        .offset:         24
        .size:           8
        .value_kind:     global_buffer
      - .offset:         32
        .size:           4
        .value_kind:     hidden_block_count_x
      - .offset:         36
        .size:           4
        .value_kind:     hidden_block_count_y
      - .offset:         40
        .size:           4
        .value_kind:     hidden_block_count_z
      - .offset:         44
        .size:           2
        .value_kind:     hidden_group_size_x
      - .offset:         46
        .size:           2
        .value_kind:     hidden_group_size_y
      - .offset:         48
        .size:           2
        .value_kind:     hidden_group_size_z
      - .offset:         50
        .size:           2
        .value_kind:     hidden_remainder_x
      - .offset:         52
        .size:           2
        .value_kind:     hidden_remainder_y
      - .offset:         54
        .size:           2
        .value_kind:     hidden_remainder_z
      - .offset:         72
        .size:           8
        .value_kind:     hidden_global_offset_x
      - .offset:         80
        .size:           8
        .value_kind:     hidden_global_offset_y
      - .offset:         88
        .size:           8
        .value_kind:     hidden_global_offset_z
      - .offset:         96
        .size:           2
        .value_kind:     hidden_grid_dims
    .group_segment_fixed_size: 0
    .kernarg_segment_align: 8
    .kernarg_segment_size: 288
    .language:       OpenCL C
    .language_version:
      - 2
      - 0
    .max_flat_workgroup_size: 1024
    .name:           _Z10chi_kerneljjiiPKhPf
    .private_segment_fixed_size: 0
    .sgpr_count:     18
    .sgpr_spill_count: 0
    .symbol:         _Z10chi_kerneljjiiPKhPf.kd
    .uniform_work_group_size: 1
    .uses_dynamic_stack: false
    .vgpr_count:     37
    .vgpr_spill_count: 0
    .wavefront_size: 32
    .workgroup_processor_mode: 1
amdhsa.target:   amdgcn-amd-amdhsa--gfx1100
amdhsa.version:
  - 1
  - 2
...

	.end_amdgpu_metadata
